;; amdgpu-corpus repo=ROCm/rocFFT kind=compiled arch=gfx906 opt=O3
	.text
	.amdgcn_target "amdgcn-amd-amdhsa--gfx906"
	.amdhsa_code_object_version 6
	.protected	fft_rtc_back_len280_factors_8_5_7_wgs_392_tpt_56_half_ip_CI_sbcc_twdbase5_3step_dirReg_intrinsicRead ; -- Begin function fft_rtc_back_len280_factors_8_5_7_wgs_392_tpt_56_half_ip_CI_sbcc_twdbase5_3step_dirReg_intrinsicRead
	.globl	fft_rtc_back_len280_factors_8_5_7_wgs_392_tpt_56_half_ip_CI_sbcc_twdbase5_3step_dirReg_intrinsicRead
	.p2align	8
	.type	fft_rtc_back_len280_factors_8_5_7_wgs_392_tpt_56_half_ip_CI_sbcc_twdbase5_3step_dirReg_intrinsicRead,@function
fft_rtc_back_len280_factors_8_5_7_wgs_392_tpt_56_half_ip_CI_sbcc_twdbase5_3step_dirReg_intrinsicRead: ; @fft_rtc_back_len280_factors_8_5_7_wgs_392_tpt_56_half_ip_CI_sbcc_twdbase5_3step_dirReg_intrinsicRead
; %bb.0:
	s_load_dwordx8 s[8:15], s[4:5], 0x8
	s_movk_i32 s0, 0x60
	v_cmp_gt_u32_e32 vcc, s0, v0
	s_and_saveexec_b64 s[0:1], vcc
	s_cbranch_execz .LBB0_2
; %bb.1:
	v_lshlrev_b32_e32 v1, 2, v0
	s_waitcnt lgkmcnt(0)
	global_load_dword v2, v1, s[8:9]
	v_add_u32_e32 v1, 0, v1
	s_waitcnt vmcnt(0)
	ds_write_b32 v1, v2 offset:7840
.LBB0_2:
	s_or_b64 exec, exec, s[0:1]
	s_waitcnt lgkmcnt(0)
	s_load_dwordx2 s[22:23], s[12:13], 0x8
	s_mov_b32 s7, 0
	s_mov_b64 s[24:25], 0
	s_waitcnt lgkmcnt(0)
	s_add_u32 s0, s22, -1
	s_addc_u32 s1, s23, -1
	s_add_u32 s2, 0, 0x92481000
	s_addc_u32 s3, 0, 0x64
	s_mul_hi_u32 s9, s2, -7
	s_add_i32 s3, s3, 0x249248c0
	s_sub_i32 s9, s9, s2
	s_mul_i32 s18, s3, -7
	s_mul_i32 s8, s2, -7
	s_add_i32 s9, s9, s18
	s_mul_hi_u32 s16, s3, s8
	s_mul_i32 s17, s3, s8
	s_mul_i32 s19, s2, s9
	s_mul_hi_u32 s8, s2, s8
	s_mul_hi_u32 s18, s2, s9
	s_add_u32 s8, s8, s19
	s_addc_u32 s18, 0, s18
	s_add_u32 s8, s8, s17
	s_mul_hi_u32 s19, s3, s9
	s_addc_u32 s8, s18, s16
	s_addc_u32 s16, s19, 0
	s_mul_i32 s9, s3, s9
	s_add_u32 s8, s8, s9
	v_mov_b32_e32 v1, s8
	s_addc_u32 s9, 0, s16
	v_add_co_u32_e32 v1, vcc, s2, v1
	s_cmp_lg_u64 vcc, 0
	s_addc_u32 s2, s3, s9
	v_readfirstlane_b32 s9, v1
	s_mul_i32 s8, s0, s2
	s_mul_hi_u32 s16, s0, s9
	s_mul_hi_u32 s3, s0, s2
	s_add_u32 s8, s16, s8
	s_addc_u32 s3, 0, s3
	s_mul_hi_u32 s17, s1, s9
	s_mul_i32 s9, s1, s9
	s_add_u32 s8, s8, s9
	s_mul_hi_u32 s16, s1, s2
	s_addc_u32 s3, s3, s17
	s_addc_u32 s8, s16, 0
	s_mul_i32 s2, s1, s2
	s_add_u32 s2, s3, s2
	s_addc_u32 s3, 0, s8
	s_add_u32 s8, s2, 1
	s_addc_u32 s9, s3, 0
	s_add_u32 s16, s2, 2
	s_mul_i32 s18, s3, 7
	s_mul_hi_u32 s19, s2, 7
	s_addc_u32 s17, s3, 0
	s_add_i32 s19, s19, s18
	s_mul_i32 s18, s2, 7
	v_mov_b32_e32 v1, s18
	v_sub_co_u32_e32 v1, vcc, s0, v1
	s_cmp_lg_u64 vcc, 0
	s_subb_u32 s0, s1, s19
	v_subrev_co_u32_e32 v2, vcc, 7, v1
	s_cmp_lg_u64 vcc, 0
	s_subb_u32 s1, s0, 0
	v_readfirstlane_b32 s18, v2
	s_cmp_gt_u32 s18, 6
	s_cselect_b32 s18, -1, 0
	s_cmp_eq_u32 s1, 0
	s_cselect_b32 s1, s18, -1
	s_cmp_lg_u32 s1, 0
	s_cselect_b32 s1, s16, s8
	s_cselect_b32 s8, s17, s9
	v_readfirstlane_b32 s9, v1
	s_cmp_gt_u32 s9, 6
	s_cselect_b32 s9, -1, 0
	s_cmp_eq_u32 s0, 0
	s_cselect_b32 s0, s9, -1
	s_cmp_lg_u32 s0, 0
	s_cselect_b32 s1, s1, s2
	s_cselect_b32 s0, s8, s3
	s_add_u32 s2, s1, 1
	s_addc_u32 s3, s0, 0
	v_mov_b32_e32 v1, s2
	v_mov_b32_e32 v2, s3
	v_cmp_lt_u64_e32 vcc, s[6:7], v[1:2]
	s_cbranch_vccnz .LBB0_4
; %bb.3:
	v_cvt_f32_u32_e32 v1, s2
	s_sub_i32 s0, 0, s2
	s_mov_b32 s25, s7
	v_rcp_iflag_f32_e32 v1, v1
	v_mul_f32_e32 v1, 0x4f7ffffe, v1
	v_cvt_u32_f32_e32 v1, v1
	v_readfirstlane_b32 s1, v1
	s_mul_i32 s0, s0, s1
	s_mul_hi_u32 s0, s1, s0
	s_add_i32 s1, s1, s0
	s_mul_hi_u32 s0, s6, s1
	s_mul_i32 s8, s0, s2
	s_sub_i32 s8, s6, s8
	s_add_i32 s1, s0, 1
	s_sub_i32 s9, s8, s2
	s_cmp_ge_u32 s8, s2
	s_cselect_b32 s0, s1, s0
	s_cselect_b32 s8, s9, s8
	s_add_i32 s1, s0, 1
	s_cmp_ge_u32 s8, s2
	s_cselect_b32 s24, s1, s0
.LBB0_4:
	s_mul_i32 s0, s24, s3
	s_mul_hi_u32 s1, s24, s2
	s_load_dwordx2 s[8:9], s[4:5], 0x58
	s_load_dwordx2 s[20:21], s[4:5], 0x0
	s_load_dwordx4 s[16:19], s[14:15], 0x0
	s_add_i32 s1, s1, s0
	s_mul_i32 s0, s24, s2
	s_sub_u32 s36, s6, s0
	s_subb_u32 s0, 0, s1
	s_mul_i32 s0, s0, 7
	s_mul_hi_u32 s33, s36, 7
	s_add_i32 s33, s33, s0
	s_mul_i32 s36, s36, 7
	s_waitcnt lgkmcnt(0)
	s_mul_i32 s0, s18, s33
	s_mul_hi_u32 s1, s18, s36
	s_add_i32 s0, s1, s0
	s_mul_i32 s1, s19, s36
	s_add_i32 s37, s0, s1
	v_cmp_lt_u64_e64 s[0:1], s[10:11], 3
	s_mul_i32 s38, s18, s36
	s_and_b64 vcc, exec, s[0:1]
	s_cbranch_vccnz .LBB0_14
; %bb.5:
	s_add_u32 s4, s14, 16
	s_addc_u32 s5, s15, 0
	s_add_u32 s12, s12, 16
	v_mov_b32_e32 v1, s10
	s_addc_u32 s13, s13, 0
	s_mov_b64 s[26:27], 2
	s_mov_b32 s28, 0
	v_mov_b32_e32 v2, s11
.LBB0_6:                                ; =>This Inner Loop Header: Depth=1
	s_load_dwordx2 s[30:31], s[12:13], 0x0
	s_waitcnt lgkmcnt(0)
	s_or_b64 s[0:1], s[24:25], s[30:31]
	s_mov_b32 s29, s1
	s_cmp_lg_u64 s[28:29], 0
	s_cbranch_scc0 .LBB0_11
; %bb.7:                                ;   in Loop: Header=BB0_6 Depth=1
	v_cvt_f32_u32_e32 v3, s30
	v_cvt_f32_u32_e32 v4, s31
	s_sub_u32 s0, 0, s30
	s_subb_u32 s1, 0, s31
	v_mac_f32_e32 v3, 0x4f800000, v4
	v_rcp_f32_e32 v3, v3
	v_mul_f32_e32 v3, 0x5f7ffffc, v3
	v_mul_f32_e32 v4, 0x2f800000, v3
	v_trunc_f32_e32 v4, v4
	v_mac_f32_e32 v3, 0xcf800000, v4
	v_cvt_u32_f32_e32 v4, v4
	v_cvt_u32_f32_e32 v3, v3
	v_readfirstlane_b32 s29, v4
	v_readfirstlane_b32 s34, v3
	s_mul_i32 s35, s0, s29
	s_mul_hi_u32 s40, s0, s34
	s_mul_i32 s39, s1, s34
	s_add_i32 s35, s40, s35
	s_mul_i32 s41, s0, s34
	s_add_i32 s35, s35, s39
	s_mul_hi_u32 s39, s34, s35
	s_mul_i32 s40, s34, s35
	s_mul_hi_u32 s34, s34, s41
	s_add_u32 s34, s34, s40
	s_addc_u32 s39, 0, s39
	s_mul_hi_u32 s42, s29, s41
	s_mul_i32 s41, s29, s41
	s_add_u32 s34, s34, s41
	s_mul_hi_u32 s40, s29, s35
	s_addc_u32 s34, s39, s42
	s_addc_u32 s39, s40, 0
	s_mul_i32 s35, s29, s35
	s_add_u32 s34, s34, s35
	s_addc_u32 s35, 0, s39
	v_add_co_u32_e32 v3, vcc, s34, v3
	s_cmp_lg_u64 vcc, 0
	s_addc_u32 s29, s29, s35
	v_readfirstlane_b32 s35, v3
	s_mul_i32 s34, s0, s29
	s_mul_hi_u32 s39, s0, s35
	s_add_i32 s34, s39, s34
	s_mul_i32 s1, s1, s35
	s_add_i32 s34, s34, s1
	s_mul_i32 s0, s0, s35
	s_mul_hi_u32 s39, s29, s0
	s_mul_i32 s40, s29, s0
	s_mul_i32 s42, s35, s34
	s_mul_hi_u32 s0, s35, s0
	s_mul_hi_u32 s41, s35, s34
	s_add_u32 s0, s0, s42
	s_addc_u32 s35, 0, s41
	s_add_u32 s0, s0, s40
	s_mul_hi_u32 s1, s29, s34
	s_addc_u32 s0, s35, s39
	s_addc_u32 s1, s1, 0
	s_mul_i32 s34, s29, s34
	s_add_u32 s0, s0, s34
	s_addc_u32 s1, 0, s1
	v_add_co_u32_e32 v3, vcc, s0, v3
	s_cmp_lg_u64 vcc, 0
	s_addc_u32 s0, s29, s1
	v_readfirstlane_b32 s34, v3
	s_mul_i32 s29, s24, s0
	s_mul_hi_u32 s35, s24, s34
	s_mul_hi_u32 s1, s24, s0
	s_add_u32 s29, s35, s29
	s_addc_u32 s1, 0, s1
	s_mul_hi_u32 s39, s25, s34
	s_mul_i32 s34, s25, s34
	s_add_u32 s29, s29, s34
	s_mul_hi_u32 s35, s25, s0
	s_addc_u32 s1, s1, s39
	s_addc_u32 s29, s35, 0
	s_mul_i32 s0, s25, s0
	s_add_u32 s34, s1, s0
	s_addc_u32 s29, 0, s29
	s_mul_i32 s0, s30, s29
	s_mul_hi_u32 s1, s30, s34
	s_add_i32 s0, s1, s0
	s_mul_i32 s1, s31, s34
	s_add_i32 s35, s0, s1
	s_mul_i32 s1, s30, s34
	v_mov_b32_e32 v3, s1
	s_sub_i32 s0, s25, s35
	v_sub_co_u32_e32 v3, vcc, s24, v3
	s_cmp_lg_u64 vcc, 0
	s_subb_u32 s39, s0, s31
	v_subrev_co_u32_e64 v4, s[0:1], s30, v3
	s_cmp_lg_u64 s[0:1], 0
	s_subb_u32 s0, s39, 0
	s_cmp_ge_u32 s0, s31
	v_readfirstlane_b32 s39, v4
	s_cselect_b32 s1, -1, 0
	s_cmp_ge_u32 s39, s30
	s_cselect_b32 s39, -1, 0
	s_cmp_eq_u32 s0, s31
	s_cselect_b32 s0, s39, s1
	s_add_u32 s1, s34, 1
	s_addc_u32 s39, s29, 0
	s_add_u32 s40, s34, 2
	s_addc_u32 s41, s29, 0
	s_cmp_lg_u32 s0, 0
	s_cselect_b32 s0, s40, s1
	s_cselect_b32 s1, s41, s39
	s_cmp_lg_u64 vcc, 0
	s_subb_u32 s35, s25, s35
	s_cmp_ge_u32 s35, s31
	v_readfirstlane_b32 s40, v3
	s_cselect_b32 s39, -1, 0
	s_cmp_ge_u32 s40, s30
	s_cselect_b32 s40, -1, 0
	s_cmp_eq_u32 s35, s31
	s_cselect_b32 s35, s40, s39
	s_cmp_lg_u32 s35, 0
	s_cselect_b32 s1, s1, s29
	s_cselect_b32 s0, s0, s34
	s_cbranch_execnz .LBB0_9
.LBB0_8:                                ;   in Loop: Header=BB0_6 Depth=1
	v_cvt_f32_u32_e32 v3, s30
	s_sub_i32 s0, 0, s30
	v_rcp_iflag_f32_e32 v3, v3
	v_mul_f32_e32 v3, 0x4f7ffffe, v3
	v_cvt_u32_f32_e32 v3, v3
	v_readfirstlane_b32 s1, v3
	s_mul_i32 s0, s0, s1
	s_mul_hi_u32 s0, s1, s0
	s_add_i32 s1, s1, s0
	s_mul_hi_u32 s0, s24, s1
	s_mul_i32 s29, s0, s30
	s_sub_i32 s29, s24, s29
	s_add_i32 s1, s0, 1
	s_sub_i32 s34, s29, s30
	s_cmp_ge_u32 s29, s30
	s_cselect_b32 s0, s1, s0
	s_cselect_b32 s29, s34, s29
	s_add_i32 s1, s0, 1
	s_cmp_ge_u32 s29, s30
	s_cselect_b32 s0, s1, s0
	s_mov_b32 s1, s28
.LBB0_9:                                ;   in Loop: Header=BB0_6 Depth=1
	s_mul_i32 s3, s30, s3
	s_mul_hi_u32 s29, s30, s2
	s_add_i32 s3, s29, s3
	s_mul_i32 s29, s31, s2
	s_add_i32 s3, s3, s29
	s_mul_i32 s29, s0, s31
	s_mul_hi_u32 s31, s0, s30
	s_load_dwordx2 s[34:35], s[4:5], 0x0
	s_add_i32 s29, s31, s29
	s_mul_i32 s31, s1, s30
	s_mul_i32 s2, s30, s2
	s_add_i32 s29, s29, s31
	s_mul_i32 s30, s0, s30
	s_sub_u32 s24, s24, s30
	s_subb_u32 s25, s25, s29
	s_waitcnt lgkmcnt(0)
	s_mul_i32 s25, s34, s25
	s_mul_hi_u32 s29, s34, s24
	s_add_i32 s25, s29, s25
	s_mul_i32 s29, s35, s24
	s_add_i32 s25, s25, s29
	s_mul_i32 s24, s34, s24
	s_add_u32 s38, s24, s38
	s_addc_u32 s37, s25, s37
	s_add_u32 s26, s26, 1
	s_addc_u32 s27, s27, 0
	;; [unrolled: 2-line block ×3, first 2 shown]
	v_cmp_ge_u64_e32 vcc, s[26:27], v[1:2]
	s_add_u32 s12, s12, 8
	s_addc_u32 s13, s13, 0
	s_cbranch_vccnz .LBB0_12
; %bb.10:                               ;   in Loop: Header=BB0_6 Depth=1
	s_mov_b64 s[24:25], s[0:1]
	s_branch .LBB0_6
.LBB0_11:                               ;   in Loop: Header=BB0_6 Depth=1
                                        ; implicit-def: $sgpr0_sgpr1
	s_branch .LBB0_8
.LBB0_12:
	v_mov_b32_e32 v1, s2
	v_mov_b32_e32 v2, s3
	v_cmp_lt_u64_e32 vcc, s[6:7], v[1:2]
	s_mov_b64 s[24:25], 0
	s_cbranch_vccnz .LBB0_14
; %bb.13:
	v_cvt_f32_u32_e32 v1, s2
	s_sub_i32 s0, 0, s2
	v_rcp_iflag_f32_e32 v1, v1
	v_mul_f32_e32 v1, 0x4f7ffffe, v1
	v_cvt_u32_f32_e32 v1, v1
	v_readfirstlane_b32 s1, v1
	s_mul_i32 s0, s0, s1
	s_mul_hi_u32 s0, s1, s0
	s_add_i32 s1, s1, s0
	s_mul_hi_u32 s0, s6, s1
	s_mul_i32 s3, s0, s2
	s_sub_i32 s3, s6, s3
	s_add_i32 s1, s0, 1
	s_sub_i32 s4, s3, s2
	s_cmp_ge_u32 s3, s2
	s_cselect_b32 s0, s1, s0
	s_cselect_b32 s3, s4, s3
	s_add_i32 s1, s0, 1
	s_cmp_ge_u32 s3, s2
	s_cselect_b32 s24, s1, s0
.LBB0_14:
	s_lshl_b64 s[0:1], s[10:11], 3
	s_add_u32 s0, s14, s0
	s_addc_u32 s1, s15, s1
	s_load_dwordx2 s[0:1], s[0:1], 0x0
	s_mov_b32 s2, 0x24924925
	v_mul_hi_u32 v13, v0, s2
	s_mov_b32 s11, 0x20000
	s_mov_b32 s10, -2
	s_waitcnt lgkmcnt(0)
	s_mul_i32 s1, s1, s24
	s_mul_hi_u32 s2, s0, s24
	s_mul_i32 s0, s0, s24
	s_add_i32 s2, s2, s1
	v_mul_u32_u24_e32 v1, 7, v13
	s_add_u32 s6, s0, s38
	v_sub_u32_e32 v3, v0, v1
	s_addc_u32 s7, s2, s37
	v_mov_b32_e32 v1, s33
	v_add_co_u32_e32 v8, vcc, s36, v3
	v_addc_co_u32_e32 v9, vcc, 0, v1, vcc
	s_add_u32 s0, s36, 7
	v_mov_b32_e32 v1, s22
	s_addc_u32 s1, s33, 0
	v_mov_b32_e32 v2, s23
	v_cmp_le_u64_e32 vcc, s[0:1], v[1:2]
	v_mad_u64_u32 v[4:5], s[0:1], s18, v3, 0
	v_mad_u64_u32 v[6:7], s[0:1], s16, v13, 0
	s_movk_i32 s0, 0xf4
	v_cmp_lt_u32_e64 s[4:5], s0, v0
	s_movk_i32 s0, 0xf5
	v_cmp_gt_u32_e64 s[2:3], s0, v0
	v_cmp_gt_u64_e64 s[0:1], s[22:23], v[8:9]
	v_add_u32_e32 v9, 35, v13
	v_cndmask_b32_e64 v1, 0, 1, s[2:3]
	v_cndmask_b32_e64 v2, 0, 1, s[0:1]
	s_or_b64 s[4:5], s[4:5], vcc
	v_mul_lo_u32 v9, s16, v9
	v_cndmask_b32_e64 v1, v2, v1, s[4:5]
	v_and_b32_e32 v1, 1, v1
	v_add_lshl_u32 v2, v4, v6, 2
	v_cmp_eq_u32_e64 s[4:5], 1, v1
	v_cndmask_b32_e64 v1, -1, v2, s[4:5]
	v_add_lshl_u32 v2, v4, v9, 2
	v_add_u32_e32 v9, 0x46, v13
	v_add_u32_e32 v10, 0x69, v13
	;; [unrolled: 1-line block ×6, first 2 shown]
	v_mul_lo_u32 v9, s16, v9
	v_mul_lo_u32 v10, s16, v10
	;; [unrolled: 1-line block ×6, first 2 shown]
	s_lshl_b32 s12, s6, 2
	v_add_lshl_u32 v9, v4, v9, 2
	v_add_lshl_u32 v10, v4, v10, 2
	;; [unrolled: 1-line block ×6, first 2 shown]
	v_cndmask_b32_e64 v2, -1, v2, s[4:5]
	v_cndmask_b32_e64 v9, -1, v9, s[4:5]
	;; [unrolled: 1-line block ×6, first 2 shown]
	buffer_load_dword v16, v1, s[8:11], s12 offen
	buffer_load_dword v17, v2, s[8:11], s12 offen
	;; [unrolled: 1-line block ×7, first 2 shown]
	v_cndmask_b32_e64 v1, -1, v15, s[4:5]
	buffer_load_dword v2, v1, s[8:11], s12 offen
	v_mov_b32_e32 v1, v7
	s_mov_b32 s10, 0xffff
	s_movk_i32 s11, 0x39a8
	s_waitcnt vmcnt(2)
	v_pk_add_f16 v14, v17, v21 neg_lo:[0,1] neg_hi:[0,1]
	s_waitcnt vmcnt(1)
	v_pk_add_f16 v7, v18, v22 op_sel:[1,1] op_sel_hi:[0,0] neg_lo:[0,1] neg_hi:[0,1]
	v_pk_fma_f16 v17, v17, 2.0, v14 op_sel_hi:[1,0,1] neg_lo:[0,0,1] neg_hi:[0,0,1]
	s_waitcnt vmcnt(0)
	v_mad_u64_u32 v[9:10], s[4:5], s17, v13, v[1:2]
	v_mov_b32_e32 v1, v5
	v_mad_u64_u32 v[10:11], s[4:5], s19, v3, v[1:2]
	v_pk_add_f16 v1, v16, v20 neg_lo:[0,1] neg_hi:[0,1]
	v_pk_add_f16 v2, v19, v2 op_sel:[1,1] op_sel_hi:[0,0] neg_lo:[0,1] neg_hi:[0,1]
	v_pk_add_f16 v11, v1, v7
	v_pk_add_f16 v12, v1, v7 neg_lo:[0,1] neg_hi:[0,1]
	v_pk_fma_f16 v5, v16, 2.0, v1 op_sel_hi:[1,0,1] neg_lo:[0,0,1] neg_hi:[0,0,1]
	v_pk_fma_f16 v15, v19, 2.0, v2 op_sel:[1,0,0] op_sel_hi:[0,0,1] neg_lo:[0,0,1] neg_hi:[0,0,1]
	v_pk_add_f16 v16, v14, v2
	v_pk_add_f16 v2, v14, v2 neg_lo:[0,1] neg_hi:[0,1]
	v_bfi_b32 v12, s10, v11, v12
	v_bfi_b32 v16, s10, v16, v2
	v_pk_fma_f16 v7, v18, 2.0, v7 op_sel:[1,0,0] op_sel_hi:[0,0,1] neg_lo:[0,0,1] neg_hi:[0,0,1]
	v_pk_fma_f16 v18, v1, 2.0, v12 op_sel_hi:[1,0,1] neg_lo:[0,0,1] neg_hi:[0,0,1]
	v_pk_fma_f16 v1, v14, 2.0, v16 op_sel_hi:[1,0,1] neg_lo:[0,0,1] neg_hi:[0,0,1]
	v_pk_add_f16 v7, v5, v7 op_sel:[0,1] op_sel_hi:[1,0] neg_lo:[0,1] neg_hi:[0,1]
	v_pk_add_f16 v11, v17, v15 op_sel:[1,0] op_sel_hi:[0,1] neg_lo:[0,1] neg_hi:[0,1]
	v_pk_mul_f16 v2, v1, s11 op_sel_hi:[1,0]
	v_pk_fma_f16 v1, v1, s11, v18 op_sel_hi:[1,0,1] neg_lo:[1,0,0] neg_hi:[1,0,0]
	v_pk_add_f16 v14, v1, v2 op_sel:[0,1] op_sel_hi:[1,0]
	v_pk_add_f16 v1, v1, v2 op_sel:[0,1] op_sel_hi:[1,0] neg_lo:[0,1] neg_hi:[0,1]
	v_pk_add_f16 v15, v7, v11
	v_pk_add_f16 v2, v7, v11 neg_lo:[0,1] neg_hi:[0,1]
	v_lshlrev_b32_e32 v3, 2, v3
	s_and_saveexec_b64 s[4:5], s[2:3]
	s_cbranch_execz .LBB0_16
; %bb.15:
	v_pk_mul_f16 v23, v16, s11 op_sel_hi:[1,0]
	v_pk_fma_f16 v16, v16, s11, v12 op_sel_hi:[1,0,1]
	v_alignbit_b32 v17, v17, v17, 16
	v_bfi_b32 v19, s10, v15, v2
	v_mul_u32_u24_e32 v21, 56, v13
	v_pk_add_f16 v24, v16, v23 op_sel:[0,1] op_sel_hi:[1,0]
	v_pk_add_f16 v16, v16, v23 op_sel:[0,1] op_sel_hi:[1,0] neg_lo:[0,1] neg_hi:[0,1]
	v_lshlrev_b32_e32 v21, 2, v21
	v_pk_fma_f16 v22, v7, 2.0, v19 op_sel_hi:[1,0,1] neg_lo:[0,0,1] neg_hi:[0,0,1]
	v_bfi_b32 v16, s10, v24, v16
	v_pk_fma_f16 v5, v5, 2.0, v7 op_sel_hi:[1,0,1] neg_lo:[0,0,1] neg_hi:[0,0,1]
	v_pk_fma_f16 v7, v17, 2.0, v11 op_sel_hi:[1,0,1] neg_lo:[0,0,1] neg_hi:[0,0,1]
	v_add3_u32 v21, 0, v21, v3
	v_pk_fma_f16 v12, v12, 2.0, v16 op_sel_hi:[1,0,1] neg_lo:[0,0,1] neg_hi:[0,0,1]
	v_pk_add_f16 v7, v5, v7 op_sel:[0,1] op_sel_hi:[1,0] neg_lo:[0,1] neg_hi:[0,1]
	ds_write2_b32 v21, v22, v12 offset0:14 offset1:21
	v_lshrrev_b32_e32 v11, 16, v5
	v_lshrrev_b32_e32 v12, 16, v7
	v_fma_f16 v11, v11, 2.0, -v12
	v_bfi_b32 v20, s10, v14, v1
	v_lshlrev_b32_e32 v11, 16, v11
	v_fma_f16 v5, v5, 2.0, -v7
	v_pk_fma_f16 v18, v18, 2.0, v20 op_sel_hi:[1,0,1] neg_lo:[0,0,1] neg_hi:[0,0,1]
	v_or_b32_sdwa v5, v11, v5 dst_sel:DWORD dst_unused:UNUSED_PAD src0_sel:DWORD src1_sel:WORD_0
	ds_write2_b32 v21, v5, v18 offset1:7
	ds_write2_b32 v21, v7, v20 offset0:28 offset1:35
	ds_write2_b32 v21, v19, v16 offset0:42 offset1:49
.LBB0_16:
	s_or_b64 exec, exec, s[4:5]
	v_and_b32_e32 v7, 7, v13
	v_lshlrev_b32_e32 v5, 4, v7
	s_waitcnt lgkmcnt(0)
	s_barrier
	global_load_dwordx4 v[16:19], v5, s[20:21]
	v_mul_u32_u24_e32 v5, 28, v13
	v_add3_u32 v5, 0, v5, v3
	ds_read_b32 v11, v5
	ds_read_u16 v12, v5 offset:2
	ds_read_b32 v20, v5 offset:1568
	ds_read_b32 v21, v5 offset:3136
	;; [unrolled: 1-line block ×4, first 2 shown]
	s_mov_b32 s2, 0xbb9c
	s_waitcnt lgkmcnt(3)
	v_lshrrev_b32_e32 v24, 16, v20
	s_waitcnt lgkmcnt(2)
	v_lshrrev_b32_e32 v25, 16, v21
	;; [unrolled: 2-line block ×4, first 2 shown]
	s_movk_i32 s4, 0x3b9c
	s_mov_b32 s3, 0xb8b4
	s_movk_i32 s5, 0x38b4
	s_movk_i32 s10, 0x34f2
	s_waitcnt vmcnt(0)
	s_barrier
	v_mul_f16_sdwa v28, v16, v24 dst_sel:DWORD dst_unused:UNUSED_PAD src0_sel:WORD_1 src1_sel:DWORD
	v_mul_f16_sdwa v29, v16, v20 dst_sel:DWORD dst_unused:UNUSED_PAD src0_sel:WORD_1 src1_sel:DWORD
	;; [unrolled: 1-line block ×8, first 2 shown]
	v_fma_f16 v20, v16, v20, v28
	v_fma_f16 v16, v16, v24, -v29
	v_fma_f16 v21, v17, v21, v30
	v_fma_f16 v22, v18, v22, v32
	v_fma_f16 v24, v18, v26, -v33
	v_fma_f16 v18, v19, v23, v34
	v_fma_f16 v17, v17, v25, -v31
	v_fma_f16 v25, v19, v27, -v35
	v_add_f16_e32 v19, v20, v11
	v_add_f16_e32 v23, v21, v22
	;; [unrolled: 1-line block ×3, first 2 shown]
	v_sub_f16_e32 v26, v16, v25
	v_sub_f16_e32 v27, v20, v21
	;; [unrolled: 1-line block ×4, first 2 shown]
	v_add_f16_e32 v36, v16, v25
	v_add_f16_e32 v37, v12, v16
	v_sub_f16_e32 v38, v17, v16
	v_sub_f16_e32 v39, v17, v24
	v_fma_f16 v16, v23, -0.5, v11
	v_fma_f16 v11, v29, -0.5, v11
	v_add_f16_e32 v19, v19, v21
	v_sub_f16_e32 v30, v21, v20
	v_sub_f16_e32 v31, v22, v18
	v_add_f16_e32 v34, v17, v24
	v_sub_f16_e32 v35, v21, v22
	v_sub_f16_e32 v40, v20, v18
	v_add_f16_e32 v20, v27, v28
	v_add_f16_e32 v19, v19, v22
	v_fma_f16 v22, v26, s2, v16
	v_fma_f16 v28, v26, s4, v16
	;; [unrolled: 1-line block ×4, first 2 shown]
	v_add_f16_e32 v23, v30, v31
	v_fma_f16 v21, v34, -0.5, v12
	v_fma_f16 v12, v36, -0.5, v12
	v_add_f16_e32 v16, v19, v18
	v_fma_f16 v18, v39, s3, v22
	v_fma_f16 v22, v39, s5, v28
	;; [unrolled: 1-line block ×3, first 2 shown]
	v_add_f16_e32 v17, v37, v17
	v_fma_f16 v30, v40, s4, v21
	v_fma_f16 v31, v35, s2, v12
	v_fma_f16 v19, v20, s10, v18
	v_fma_f16 v18, v20, s10, v22
	v_fma_f16 v20, v23, s10, v11
	v_sub_f16_e32 v11, v24, v25
	v_fma_f16 v12, v35, s4, v12
	v_add_f16_e32 v17, v17, v24
	v_fma_f16 v28, v26, s3, v29
	v_fma_f16 v26, v35, s5, v30
	;; [unrolled: 1-line block ×3, first 2 shown]
	v_add_f16_e32 v11, v38, v11
	v_fma_f16 v12, v40, s3, v12
	v_sub_f16_e32 v33, v25, v24
	v_add_f16_e32 v17, v17, v25
	v_fma_f16 v24, v11, s10, v30
	v_fma_f16 v25, v11, s10, v12
	v_lshrrev_b32_e32 v11, 3, v13
	v_mul_u32_u24_e32 v11, 40, v11
	v_add_f16_e32 v27, v32, v33
	v_or_b32_e32 v7, v11, v7
	v_fma_f16 v21, v40, s2, v21
	v_fma_f16 v22, v27, s10, v26
	v_mul_u32_u24_e32 v7, 28, v7
	v_fma_f16 v29, v35, s3, v21
	v_fma_f16 v21, v23, s10, v28
	v_add3_u32 v3, 0, v7, v3
	v_pack_b32_f16 v7, v16, v17
	v_pack_b32_f16 v11, v19, v22
	v_fma_f16 v23, v27, s10, v29
	ds_write2_b32 v3, v7, v11 offset1:56
	v_pack_b32_f16 v7, v21, v24
	v_pack_b32_f16 v11, v20, v25
	s_movk_i32 s2, 0x118
	ds_write2_b32 v3, v7, v11 offset0:112 offset1:168
	v_pack_b32_f16 v7, v18, v23
	v_cmp_gt_u32_e64 s[2:3], s2, v0
	v_lshrrev_b32_e32 v26, 16, v1
	v_lshrrev_b32_e32 v27, 16, v2
	ds_write_b32 v3, v7 offset:896
	s_waitcnt lgkmcnt(0)
	s_barrier
	s_and_saveexec_b64 s[4:5], s[2:3]
	s_cbranch_execz .LBB0_18
; %bb.17:
	ds_read_b32 v16, v5
	ds_read_b32 v19, v5 offset:1120
	ds_read_b32 v21, v5 offset:2240
	;; [unrolled: 1-line block ×6, first 2 shown]
	s_waitcnt lgkmcnt(6)
	v_lshrrev_b32_e32 v17, 16, v16
	s_waitcnt lgkmcnt(5)
	v_lshrrev_b32_e32 v22, 16, v19
	;; [unrolled: 2-line block ×7, first 2 shown]
.LBB0_18:
	s_or_b64 exec, exec, s[4:5]
	s_mov_b32 s4, 0x6666667
	v_mul_hi_u32 v0, v13, s4
	s_add_i32 s4, 0, 0x1ea0
	s_mov_b32 s5, 0xbcab
	s_mov_b32 s10, 0xb574
	v_mul_u32_u24_e32 v0, 40, v0
	v_sub_u32_e32 v7, v13, v0
	v_mul_u32_u24_e32 v0, 6, v7
	v_lshlrev_b32_e32 v5, 2, v0
	global_load_dwordx4 v[0:3], v5, s[20:21] offset:128
	global_load_dwordx2 v[11:12], v5, s[20:21] offset:144
	v_mov_b32_e32 v5, v10
	v_mul_lo_u32 v10, v7, v8
	v_mul_lo_u32 v8, v8, 40
	v_mov_b32_e32 v7, v9
	v_and_b32_e32 v9, 31, v10
	v_add_u32_e32 v28, v10, v8
	v_add_u32_e32 v30, v28, v8
	v_and_b32_e32 v31, 31, v28
	v_lshrrev_b32_e32 v33, 3, v28
	v_lshrrev_b32_e32 v28, 8, v28
	v_add_u32_e32 v32, v30, v8
	v_lshrrev_b32_e32 v29, 3, v10
	v_lshrrev_b32_e32 v10, 8, v10
	v_lshl_add_u32 v36, v31, 2, 0
	v_and_b32_e32 v31, 0x7c, v33
	v_and_b32_e32 v28, 0x7c, v28
	;; [unrolled: 1-line block ×3, first 2 shown]
	v_lshrrev_b32_e32 v35, 3, v30
	v_lshrrev_b32_e32 v30, 8, v30
	v_add_u32_e32 v33, v32, v8
	v_and_b32_e32 v29, 0x7c, v29
	v_and_b32_e32 v10, 0x7c, v10
	v_add_u32_e32 v37, s4, v31
	v_add_u32_e32 v38, s4, v28
	v_and_b32_e32 v28, 0x7c, v35
	v_and_b32_e32 v30, 0x7c, v30
	;; [unrolled: 1-line block ×3, first 2 shown]
	v_add_u32_e32 v35, v33, v8
	v_lshl_add_u32 v9, v9, 2, 0
	v_add_u32_e32 v29, s4, v29
	v_add_u32_e32 v10, s4, v10
	v_lshl_add_u32 v39, v34, 2, 0
	v_add_u32_e32 v41, s4, v28
	v_add_u32_e32 v42, s4, v30
	v_lshl_add_u32 v28, v31, 2, 0
	v_and_b32_e32 v30, 31, v35
	v_add_u32_e32 v34, v35, v8
	v_lshl_add_u32 v8, v30, 2, 0
	v_and_b32_e32 v43, 31, v34
	ds_read_u16 v9, v9 offset:7840
	ds_read_b32 v30, v28 offset:7840
	ds_read_u16 v31, v28 offset:7842
	ds_read_b32 v44, v29 offset:128
	ds_read_b32 v10, v10 offset:256
	ds_read_u16 v36, v36 offset:7840
	ds_read_b32 v28, v8 offset:7840
	ds_read_u16 v29, v8 offset:7842
	v_lshl_add_u32 v8, v43, 2, 0
	s_waitcnt lgkmcnt(6)
	v_lshrrev_b32_e32 v43, 16, v30
	s_waitcnt lgkmcnt(4)
	v_mul_f16_sdwa v45, v9, v44 dst_sel:DWORD dst_unused:UNUSED_PAD src0_sel:DWORD src1_sel:WORD_1
	v_fma_f16 v45, v43, v44, v45
	v_mul_f16_sdwa v43, v43, v44 dst_sel:DWORD dst_unused:UNUSED_PAD src0_sel:DWORD src1_sel:WORD_1
	v_fma_f16 v9, v9, v44, -v43
	s_waitcnt lgkmcnt(3)
	v_mul_f16_sdwa v43, v45, v10 dst_sel:DWORD dst_unused:UNUSED_PAD src0_sel:DWORD src1_sel:WORD_1
	v_fma_f16 v43, v10, v9, -v43
	v_mul_f16_sdwa v9, v9, v10 dst_sel:DWORD dst_unused:UNUSED_PAD src0_sel:DWORD src1_sel:WORD_1
	v_and_b32_e32 v40, 31, v32
	v_fma_f16 v9, v10, v45, v9
	s_waitcnt vmcnt(1)
	v_mul_f16_sdwa v10, v22, v0 dst_sel:DWORD dst_unused:UNUSED_PAD src0_sel:DWORD src1_sel:WORD_1
	v_mul_f16_sdwa v44, v19, v0 dst_sel:DWORD dst_unused:UNUSED_PAD src0_sel:DWORD src1_sel:WORD_1
	;; [unrolled: 1-line block ×8, first 2 shown]
	s_waitcnt vmcnt(0)
	v_mul_f16_sdwa v51, v26, v11 dst_sel:DWORD dst_unused:UNUSED_PAD src0_sel:DWORD src1_sel:WORD_1
	v_mul_f16_sdwa v52, v14, v11 dst_sel:DWORD dst_unused:UNUSED_PAD src0_sel:DWORD src1_sel:WORD_1
	;; [unrolled: 1-line block ×4, first 2 shown]
	v_fma_f16 v10, v19, v0, v10
	v_fma_f16 v19, v22, v0, -v44
	v_fma_f16 v22, v24, v1, -v46
	v_fma_f16 v20, v20, v2, v47
	v_fma_f16 v24, v25, v2, -v48
	v_lshl_add_u32 v2, v40, 2, 0
	v_fma_f16 v21, v21, v1, v45
	v_fma_f16 v18, v18, v3, v49
	v_fma_f16 v3, v23, v3, -v50
	v_fma_f16 v14, v14, v11, v51
	v_fma_f16 v11, v26, v11, -v52
	v_fma_f16 v15, v15, v12, v53
	v_fma_f16 v12, v27, v12, -v54
	ds_read_b32 v23, v37 offset:128
	ds_read_b32 v25, v38 offset:256
	ds_read_u16 v26, v39 offset:7840
	ds_read_b32 v0, v8 offset:7840
	ds_read_u16 v1, v8 offset:7842
	ds_read_b32 v27, v41 offset:128
	ds_read_b32 v37, v42 offset:256
	;; [unrolled: 1-line block ×3, first 2 shown]
	s_waitcnt lgkmcnt(9)
	v_lshrrev_b32_e32 v8, 16, v28
	s_waitcnt lgkmcnt(7)
	v_mul_f16_sdwa v38, v8, v23 dst_sel:DWORD dst_unused:UNUSED_PAD src0_sel:DWORD src1_sel:WORD_1
	v_fma_f16 v38, v36, v23, -v38
	v_mul_f16_sdwa v36, v36, v23 dst_sel:DWORD dst_unused:UNUSED_PAD src0_sel:DWORD src1_sel:WORD_1
	v_fma_f16 v8, v8, v23, v36
	s_waitcnt lgkmcnt(6)
	v_mul_f16_sdwa v23, v8, v25 dst_sel:DWORD dst_unused:UNUSED_PAD src0_sel:DWORD src1_sel:WORD_1
	v_mul_f16_sdwa v36, v38, v25 dst_sel:DWORD dst_unused:UNUSED_PAD src0_sel:DWORD src1_sel:WORD_1
	v_fma_f16 v23, v25, v38, -v23
	v_fma_f16 v25, v25, v8, v36
	v_add_f16_e32 v36, v10, v15
	v_add_f16_e32 v38, v19, v12
	v_sub_f16_e32 v12, v19, v12
	v_add_f16_e32 v19, v21, v14
	v_sub_f16_e32 v14, v21, v14
	;; [unrolled: 2-line block ×3, first 2 shown]
	v_sub_f16_e32 v22, v22, v11
	v_add_f16_e32 v10, v20, v18
	v_sub_f16_e32 v11, v18, v20
	v_add_f16_e32 v18, v24, v3
	v_add_f16_e32 v8, v19, v36
	;; [unrolled: 1-line block ×7, first 2 shown]
	v_sub_f16_e32 v3, v3, v24
	v_fma_f16 v24, v8, s5, v16
	v_mul_f16_e32 v8, v17, v9
	v_mul_f16_e32 v9, v16, v9
	v_fma_f16 v8, v16, v43, v8
	v_fma_f16 v9, v17, v43, -v9
	v_fma_f16 v16, v20, s5, v17
	v_sub_f16_e32 v17, v36, v10
	v_sub_f16_e32 v20, v10, v19
	;; [unrolled: 1-line block ×3, first 2 shown]
	v_mul_f16_e32 v17, 0x3a52, v17
	s_movk_i32 s5, 0x2b26
	v_sub_f16_e32 v18, v18, v21
	v_sub_f16_e32 v40, v11, v14
	v_mul_f16_e32 v44, 0x3a52, v10
	v_fma_f16 v10, v20, s5, v17
	v_add_f16_e32 v39, v11, v14
	v_sub_f16_e32 v41, v15, v11
	v_sub_f16_e32 v42, v3, v22
	v_mul_f16_e32 v40, 0x3846, v40
	v_add_f16_e32 v45, v10, v24
	v_fma_f16 v10, v18, s5, v44
	v_add_f16_e32 v11, v3, v22
	v_sub_f16_e32 v3, v12, v3
	v_add_f16_e32 v39, v39, v15
	v_mul_f16_e32 v42, 0x3846, v42
	v_add_f16_e32 v46, v10, v16
	s_mov_b32 s5, 0xb70e
	v_fma_f16 v10, v41, s10, v40
	v_add_f16_e32 v43, v11, v12
	v_fma_f16 v47, v39, s5, v10
	v_fma_f16 v10, v3, s10, v42
	;; [unrolled: 1-line block ×3, first 2 shown]
	v_sub_f16_e32 v49, v46, v47
	v_add_f16_e32 v11, v48, v45
	v_mul_f16_e32 v10, v49, v25
	v_fma_f16 v10, v11, v23, v10
	v_mul_f16_e32 v11, v11, v25
	v_fma_f16 v11, v49, v23, -v11
	s_waitcnt lgkmcnt(4)
	v_lshrrev_b32_e32 v23, 16, v0
	s_waitcnt lgkmcnt(2)
	v_mul_f16_sdwa v25, v23, v27 dst_sel:DWORD dst_unused:UNUSED_PAD src0_sel:DWORD src1_sel:WORD_1
	v_sub_f16_e32 v15, v14, v15
	v_sub_f16_e32 v22, v22, v12
	v_fma_f16 v25, v26, v27, -v25
	v_mul_f16_sdwa v26, v26, v27 dst_sel:DWORD dst_unused:UNUSED_PAD src0_sel:DWORD src1_sel:WORD_1
	s_movk_i32 s10, 0x3574
	v_mul_f16_e32 v12, 0xbb00, v15
	v_mul_f16_e32 v14, 0xbb00, v22
	v_fma_f16 v23, v23, v27, v26
	v_sub_f16_e32 v19, v19, v36
	v_sub_f16_e32 v21, v21, v38
	v_fma_f16 v12, v41, s10, -v12
	v_fma_f16 v3, v3, s10, -v14
	s_mov_b32 s10, 0xb9e0
	s_waitcnt lgkmcnt(1)
	v_mul_f16_sdwa v26, v23, v37 dst_sel:DWORD dst_unused:UNUSED_PAD src0_sel:DWORD src1_sel:WORD_1
	v_fma_f16 v14, v19, s10, -v17
	v_fma_f16 v17, v21, s10, -v44
	;; [unrolled: 1-line block ×3, first 2 shown]
	v_mul_f16_sdwa v25, v25, v37 dst_sel:DWORD dst_unused:UNUSED_PAD src0_sel:DWORD src1_sel:WORD_1
	v_add_f16_e32 v17, v17, v16
	v_fma_f16 v27, v39, s5, v12
	v_fma_f16 v23, v37, v23, v25
	v_add_f16_e32 v25, v14, v24
	v_fma_f16 v3, v43, s5, v3
	v_sub_f16_e32 v36, v17, v27
	v_add_f16_e32 v14, v3, v25
	v_mul_f16_e32 v12, v36, v23
	v_fma_f16 v12, v14, v26, v12
	v_mul_f16_e32 v14, v14, v23
	v_fma_f16 v14, v36, v26, -v14
	v_lshrrev_b32_e32 v23, 3, v32
	v_lshrrev_b32_e32 v26, 8, v32
	;; [unrolled: 1-line block ×8, first 2 shown]
	v_and_b32_e32 v23, 0x7c, v23
	v_and_b32_e32 v26, 0x7c, v26
	;; [unrolled: 1-line block ×8, first 2 shown]
	v_add_u32_e32 v23, s4, v23
	v_add_u32_e32 v26, s4, v26
	;; [unrolled: 1-line block ×8, first 2 shown]
	s_waitcnt lgkmcnt(0)
	v_lshrrev_b32_e32 v38, 16, v2
	v_mul_f16_e32 v20, 0x2b26, v20
	s_movk_i32 s4, 0x39e0
	v_mul_f16_e32 v18, 0x2b26, v18
	ds_read_b32 v23, v23 offset:128
	ds_read_b32 v26, v26 offset:256
	;; [unrolled: 1-line block ×8, first 2 shown]
	s_waitcnt lgkmcnt(7)
	v_mul_f16_sdwa v41, v38, v23 dst_sel:DWORD dst_unused:UNUSED_PAD src0_sel:DWORD src1_sel:WORD_1
	v_fma_f16 v19, v19, s4, -v20
	v_fma_f16 v18, v21, s4, -v18
	s_mov_b32 s4, 0xbb00
	v_fma_f16 v41, v2, v23, -v41
	v_mul_f16_sdwa v2, v2, v23 dst_sel:DWORD dst_unused:UNUSED_PAD src0_sel:DWORD src1_sel:WORD_1
	v_fma_f16 v15, v15, s4, -v40
	v_fma_f16 v20, v22, s4, -v42
	v_fma_f16 v2, v38, v23, v2
	s_waitcnt lgkmcnt(6)
	v_mul_f16_sdwa v38, v41, v26 dst_sel:DWORD dst_unused:UNUSED_PAD src0_sel:DWORD src1_sel:WORD_1
	v_add_f16_e32 v19, v19, v24
	v_add_f16_e32 v18, v18, v16
	v_fma_f16 v21, v39, s5, v15
	v_fma_f16 v20, v43, s5, v20
	v_mul_f16_sdwa v23, v2, v26 dst_sel:DWORD dst_unused:UNUSED_PAD src0_sel:DWORD src1_sel:WORD_1
	v_fma_f16 v2, v26, v2, v38
	v_sub_f16_e32 v16, v19, v20
	v_add_f16_e32 v22, v21, v18
	v_fma_f16 v23, v26, v41, -v23
	v_mul_f16_e32 v15, v22, v2
	v_mul_f16_e32 v2, v16, v2
	v_sub_f16_e32 v18, v18, v21
	s_waitcnt lgkmcnt(5)
	v_mul_f16_sdwa v21, v30, v32 dst_sel:DWORD dst_unused:UNUSED_PAD src0_sel:DWORD src1_sel:WORD_1
	v_fma_f16 v15, v16, v23, v15
	v_fma_f16 v16, v22, v23, -v2
	v_add_f16_e32 v2, v20, v19
	v_add_f16_e32 v19, v27, v17
	v_mul_f16_sdwa v17, v31, v32 dst_sel:DWORD dst_unused:UNUSED_PAD src0_sel:DWORD src1_sel:WORD_1
	v_fma_f16 v21, v31, v32, v21
	v_fma_f16 v17, v30, v32, -v17
	s_waitcnt lgkmcnt(4)
	v_mul_f16_sdwa v22, v21, v33 dst_sel:DWORD dst_unused:UNUSED_PAD src0_sel:DWORD src1_sel:WORD_1
	v_fma_f16 v22, v33, v17, -v22
	v_mul_f16_sdwa v17, v17, v33 dst_sel:DWORD dst_unused:UNUSED_PAD src0_sel:DWORD src1_sel:WORD_1
	v_fma_f16 v17, v33, v21, v17
	v_mul_f16_e32 v21, v18, v17
	v_fma_f16 v21, v2, v22, v21
	v_mul_f16_e32 v2, v2, v17
	s_waitcnt lgkmcnt(3)
	v_mul_f16_sdwa v17, v28, v36 dst_sel:DWORD dst_unused:UNUSED_PAD src0_sel:DWORD src1_sel:WORD_1
	v_fma_f16 v22, v18, v22, -v2
	v_mul_f16_sdwa v2, v29, v36 dst_sel:DWORD dst_unused:UNUSED_PAD src0_sel:DWORD src1_sel:WORD_1
	v_fma_f16 v17, v29, v36, v17
	v_fma_f16 v2, v28, v36, -v2
	s_waitcnt lgkmcnt(2)
	v_mul_f16_sdwa v18, v17, v35 dst_sel:DWORD dst_unused:UNUSED_PAD src0_sel:DWORD src1_sel:WORD_1
	v_fma_f16 v18, v35, v2, -v18
	v_mul_f16_sdwa v2, v2, v35 dst_sel:DWORD dst_unused:UNUSED_PAD src0_sel:DWORD src1_sel:WORD_1
	v_sub_f16_e32 v3, v25, v3
	v_fma_f16 v2, v35, v17, v2
	v_mul_f16_e32 v17, v19, v2
	v_mul_f16_e32 v2, v3, v2
	v_fma_f16 v17, v3, v18, v17
	v_fma_f16 v18, v19, v18, -v2
	s_waitcnt lgkmcnt(1)
	v_mul_f16_sdwa v2, v1, v37 dst_sel:DWORD dst_unused:UNUSED_PAD src0_sel:DWORD src1_sel:WORD_1
	v_fma_f16 v2, v0, v37, -v2
	v_mul_f16_sdwa v0, v0, v37 dst_sel:DWORD dst_unused:UNUSED_PAD src0_sel:DWORD src1_sel:WORD_1
	v_fma_f16 v0, v1, v37, v0
	s_waitcnt lgkmcnt(0)
	v_mul_f16_sdwa v1, v0, v34 dst_sel:DWORD dst_unused:UNUSED_PAD src0_sel:DWORD src1_sel:WORD_1
	v_fma_f16 v1, v34, v2, -v1
	v_mul_f16_sdwa v2, v2, v34 dst_sel:DWORD dst_unused:UNUSED_PAD src0_sel:DWORD src1_sel:WORD_1
	v_sub_f16_e32 v20, v45, v48
	v_add_f16_e32 v23, v47, v46
	v_fma_f16 v0, v34, v0, v2
	v_mul_f16_e32 v2, v23, v0
	v_mul_f16_e32 v0, v20, v0
	v_fma_f16 v19, v20, v1, v2
	v_fma_f16 v20, v23, v1, -v0
	v_lshlrev_b64 v[2:3], 2, v[4:5]
	v_lshlrev_b64 v[0:1], 2, v[6:7]
	s_and_b64 s[4:5], s[2:3], vcc
	v_add_u32_e32 v4, 40, v13
	s_and_saveexec_b64 s[10:11], s[4:5]
	s_cbranch_execz .LBB0_20
; %bb.19:
	s_lshl_b64 s[4:5], s[6:7], 2
	s_add_u32 s4, s8, s4
	s_addc_u32 s5, s9, s5
	v_mov_b32_e32 v5, s5
	v_add_co_u32_e64 v27, s[4:5], s4, v2
	v_addc_co_u32_e64 v28, s[4:5], v5, v3, s[4:5]
	v_mad_u64_u32 v[5:6], s[4:5], s16, v4, 0
	v_add_co_u32_e64 v23, s[4:5], v27, v0
	v_add_u32_e32 v30, 0x50, v13
	v_addc_co_u32_e64 v24, s[4:5], v28, v1, s[4:5]
	v_mad_u64_u32 v[25:26], s[4:5], s16, v30, 0
	v_mad_u64_u32 v[6:7], s[4:5], s17, v4, v[6:7]
	s_mov_b32 s12, 0x5040100
	v_perm_b32 v29, v9, v8, s12
	v_mov_b32_e32 v7, v26
	global_store_dword v[23:24], v29, off
	v_mad_u64_u32 v[23:24], s[4:5], s17, v30, v[7:8]
	v_lshlrev_b64 v[5:6], 2, v[5:6]
	v_perm_b32 v7, v11, v10, s12
	v_add_co_u32_e64 v5, s[4:5], v27, v5
	v_addc_co_u32_e64 v6, s[4:5], v28, v6, s[4:5]
	v_mov_b32_e32 v26, v23
	global_store_dword v[5:6], v7, off
	v_lshlrev_b64 v[5:6], 2, v[25:26]
	v_add_u32_e32 v25, 0x78, v13
	v_mad_u64_u32 v[23:24], s[4:5], s16, v25, 0
	v_add_co_u32_e64 v5, s[4:5], v27, v5
	v_mov_b32_e32 v7, v24
	v_addc_co_u32_e64 v6, s[4:5], v28, v6, s[4:5]
	v_mad_u64_u32 v[24:25], s[4:5], s17, v25, v[7:8]
	v_add_u32_e32 v30, 0xa0, v13
	v_mad_u64_u32 v[25:26], s[4:5], s16, v30, 0
	v_perm_b32 v29, v14, v12, s12
	global_store_dword v[5:6], v29, off
	v_mov_b32_e32 v7, v26
	v_lshlrev_b64 v[5:6], 2, v[23:24]
	v_mad_u64_u32 v[23:24], s[4:5], s17, v30, v[7:8]
	v_add_co_u32_e64 v5, s[4:5], v27, v5
	v_addc_co_u32_e64 v6, s[4:5], v28, v6, s[4:5]
	v_perm_b32 v7, v16, v15, s12
	v_mov_b32_e32 v26, v23
	global_store_dword v[5:6], v7, off
	v_lshlrev_b64 v[5:6], 2, v[25:26]
	v_add_u32_e32 v25, 0xc8, v13
	v_mad_u64_u32 v[23:24], s[4:5], s16, v25, 0
	v_add_co_u32_e64 v5, s[4:5], v27, v5
	v_mov_b32_e32 v7, v24
	v_addc_co_u32_e64 v6, s[4:5], v28, v6, s[4:5]
	v_mad_u64_u32 v[24:25], s[4:5], s17, v25, v[7:8]
	v_add_u32_e32 v30, 0xf0, v13
	v_mad_u64_u32 v[25:26], s[4:5], s16, v30, 0
	v_perm_b32 v29, v22, v21, s12
	global_store_dword v[5:6], v29, off
	v_mov_b32_e32 v7, v26
	v_lshlrev_b64 v[5:6], 2, v[23:24]
	v_mad_u64_u32 v[23:24], s[4:5], s17, v30, v[7:8]
	v_add_co_u32_e64 v5, s[4:5], v27, v5
	v_addc_co_u32_e64 v6, s[4:5], v28, v6, s[4:5]
	v_perm_b32 v7, v18, v17, s12
	v_mov_b32_e32 v26, v23
	global_store_dword v[5:6], v7, off
	v_lshlrev_b64 v[5:6], 2, v[25:26]
	v_perm_b32 v7, v20, v19, s12
	v_add_co_u32_e64 v5, s[4:5], v27, v5
	v_addc_co_u32_e64 v6, s[4:5], v28, v6, s[4:5]
	global_store_dword v[5:6], v7, off
.LBB0_20:
	s_or_b64 exec, exec, s[10:11]
	s_xor_b64 s[4:5], vcc, -1
	s_and_b64 s[0:1], s[2:3], s[0:1]
	s_and_b64 s[0:1], s[4:5], s[0:1]
	s_and_saveexec_b64 s[2:3], s[0:1]
	s_cbranch_execz .LBB0_22
; %bb.21:
	s_lshl_b64 s[0:1], s[6:7], 2
	s_add_u32 s0, s8, s0
	s_addc_u32 s1, s9, s1
	v_mov_b32_e32 v5, s1
	v_add_co_u32_e32 v6, vcc, s0, v2
	v_addc_co_u32_e32 v7, vcc, v5, v3, vcc
	v_mad_u64_u32 v[2:3], s[0:1], s16, v4, 0
	s_mov_b32 s2, 0x5040100
	v_perm_b32 v8, v9, v8, s2
	v_mad_u64_u32 v[3:4], s[0:1], s17, v4, v[3:4]
	v_add_u32_e32 v9, 0x50, v13
	v_mad_u64_u32 v[4:5], s[0:1], s16, v9, 0
	v_add_co_u32_e32 v0, vcc, v6, v0
	v_addc_co_u32_e32 v1, vcc, v7, v1, vcc
	global_store_dword v[0:1], v8, off
	v_lshlrev_b64 v[0:1], 2, v[2:3]
	v_mov_b32_e32 v2, v5
	v_mad_u64_u32 v[2:3], s[0:1], s17, v9, v[2:3]
	v_add_co_u32_e32 v0, vcc, v6, v0
	v_addc_co_u32_e32 v1, vcc, v7, v1, vcc
	v_perm_b32 v3, v11, v10, s2
	v_mov_b32_e32 v5, v2
	global_store_dword v[0:1], v3, off
	v_lshlrev_b64 v[0:1], 2, v[4:5]
	v_add_u32_e32 v4, 0x78, v13
	v_mad_u64_u32 v[2:3], s[0:1], s16, v4, 0
	v_add_u32_e32 v9, 0xa0, v13
	v_add_co_u32_e32 v0, vcc, v6, v0
	v_mad_u64_u32 v[3:4], s[0:1], s17, v4, v[3:4]
	v_mad_u64_u32 v[4:5], s[0:1], s16, v9, 0
	v_addc_co_u32_e32 v1, vcc, v7, v1, vcc
	v_perm_b32 v8, v14, v12, s2
	global_store_dword v[0:1], v8, off
	v_lshlrev_b64 v[0:1], 2, v[2:3]
	v_mov_b32_e32 v2, v5
	v_mad_u64_u32 v[2:3], s[0:1], s17, v9, v[2:3]
	v_add_co_u32_e32 v0, vcc, v6, v0
	v_addc_co_u32_e32 v1, vcc, v7, v1, vcc
	v_perm_b32 v3, v16, v15, s2
	v_mov_b32_e32 v5, v2
	global_store_dword v[0:1], v3, off
	v_lshlrev_b64 v[0:1], 2, v[4:5]
	v_add_u32_e32 v4, 0xc8, v13
	v_mad_u64_u32 v[2:3], s[0:1], s16, v4, 0
	v_add_u32_e32 v9, 0xf0, v13
	v_add_co_u32_e32 v0, vcc, v6, v0
	v_mad_u64_u32 v[3:4], s[0:1], s17, v4, v[3:4]
	v_mad_u64_u32 v[4:5], s[0:1], s16, v9, 0
	v_addc_co_u32_e32 v1, vcc, v7, v1, vcc
	v_perm_b32 v8, v22, v21, s2
	global_store_dword v[0:1], v8, off
	v_lshlrev_b64 v[0:1], 2, v[2:3]
	v_mov_b32_e32 v2, v5
	v_mad_u64_u32 v[2:3], s[0:1], s17, v9, v[2:3]
	v_add_co_u32_e32 v0, vcc, v6, v0
	v_addc_co_u32_e32 v1, vcc, v7, v1, vcc
	v_perm_b32 v3, v18, v17, s2
	v_mov_b32_e32 v5, v2
	global_store_dword v[0:1], v3, off
	v_lshlrev_b64 v[0:1], 2, v[4:5]
	v_perm_b32 v2, v20, v19, s2
	v_add_co_u32_e32 v0, vcc, v6, v0
	v_addc_co_u32_e32 v1, vcc, v7, v1, vcc
	global_store_dword v[0:1], v2, off
.LBB0_22:
	s_endpgm
	.section	.rodata,"a",@progbits
	.p2align	6, 0x0
	.amdhsa_kernel fft_rtc_back_len280_factors_8_5_7_wgs_392_tpt_56_half_ip_CI_sbcc_twdbase5_3step_dirReg_intrinsicRead
		.amdhsa_group_segment_fixed_size 0
		.amdhsa_private_segment_fixed_size 0
		.amdhsa_kernarg_size 96
		.amdhsa_user_sgpr_count 6
		.amdhsa_user_sgpr_private_segment_buffer 1
		.amdhsa_user_sgpr_dispatch_ptr 0
		.amdhsa_user_sgpr_queue_ptr 0
		.amdhsa_user_sgpr_kernarg_segment_ptr 1
		.amdhsa_user_sgpr_dispatch_id 0
		.amdhsa_user_sgpr_flat_scratch_init 0
		.amdhsa_user_sgpr_private_segment_size 0
		.amdhsa_uses_dynamic_stack 0
		.amdhsa_system_sgpr_private_segment_wavefront_offset 0
		.amdhsa_system_sgpr_workgroup_id_x 1
		.amdhsa_system_sgpr_workgroup_id_y 0
		.amdhsa_system_sgpr_workgroup_id_z 0
		.amdhsa_system_sgpr_workgroup_info 0
		.amdhsa_system_vgpr_workitem_id 0
		.amdhsa_next_free_vgpr 55
		.amdhsa_next_free_sgpr 43
		.amdhsa_reserve_vcc 1
		.amdhsa_reserve_flat_scratch 0
		.amdhsa_float_round_mode_32 0
		.amdhsa_float_round_mode_16_64 0
		.amdhsa_float_denorm_mode_32 3
		.amdhsa_float_denorm_mode_16_64 3
		.amdhsa_dx10_clamp 1
		.amdhsa_ieee_mode 1
		.amdhsa_fp16_overflow 0
		.amdhsa_exception_fp_ieee_invalid_op 0
		.amdhsa_exception_fp_denorm_src 0
		.amdhsa_exception_fp_ieee_div_zero 0
		.amdhsa_exception_fp_ieee_overflow 0
		.amdhsa_exception_fp_ieee_underflow 0
		.amdhsa_exception_fp_ieee_inexact 0
		.amdhsa_exception_int_div_zero 0
	.end_amdhsa_kernel
	.text
.Lfunc_end0:
	.size	fft_rtc_back_len280_factors_8_5_7_wgs_392_tpt_56_half_ip_CI_sbcc_twdbase5_3step_dirReg_intrinsicRead, .Lfunc_end0-fft_rtc_back_len280_factors_8_5_7_wgs_392_tpt_56_half_ip_CI_sbcc_twdbase5_3step_dirReg_intrinsicRead
                                        ; -- End function
	.section	.AMDGPU.csdata,"",@progbits
; Kernel info:
; codeLenInByte = 6252
; NumSgprs: 47
; NumVgprs: 55
; ScratchSize: 0
; MemoryBound: 0
; FloatMode: 240
; IeeeMode: 1
; LDSByteSize: 0 bytes/workgroup (compile time only)
; SGPRBlocks: 5
; VGPRBlocks: 13
; NumSGPRsForWavesPerEU: 47
; NumVGPRsForWavesPerEU: 55
; Occupancy: 4
; WaveLimiterHint : 1
; COMPUTE_PGM_RSRC2:SCRATCH_EN: 0
; COMPUTE_PGM_RSRC2:USER_SGPR: 6
; COMPUTE_PGM_RSRC2:TRAP_HANDLER: 0
; COMPUTE_PGM_RSRC2:TGID_X_EN: 1
; COMPUTE_PGM_RSRC2:TGID_Y_EN: 0
; COMPUTE_PGM_RSRC2:TGID_Z_EN: 0
; COMPUTE_PGM_RSRC2:TIDIG_COMP_CNT: 0
	.type	__hip_cuid_18fff5e7b54c2829,@object ; @__hip_cuid_18fff5e7b54c2829
	.section	.bss,"aw",@nobits
	.globl	__hip_cuid_18fff5e7b54c2829
__hip_cuid_18fff5e7b54c2829:
	.byte	0                               ; 0x0
	.size	__hip_cuid_18fff5e7b54c2829, 1

	.ident	"AMD clang version 19.0.0git (https://github.com/RadeonOpenCompute/llvm-project roc-6.4.0 25133 c7fe45cf4b819c5991fe208aaa96edf142730f1d)"
	.section	".note.GNU-stack","",@progbits
	.addrsig
	.addrsig_sym __hip_cuid_18fff5e7b54c2829
	.amdgpu_metadata
---
amdhsa.kernels:
  - .args:
      - .actual_access:  read_only
        .address_space:  global
        .offset:         0
        .size:           8
        .value_kind:     global_buffer
      - .address_space:  global
        .offset:         8
        .size:           8
        .value_kind:     global_buffer
      - .offset:         16
        .size:           8
        .value_kind:     by_value
      - .actual_access:  read_only
        .address_space:  global
        .offset:         24
        .size:           8
        .value_kind:     global_buffer
      - .actual_access:  read_only
        .address_space:  global
        .offset:         32
        .size:           8
        .value_kind:     global_buffer
      - .offset:         40
        .size:           8
        .value_kind:     by_value
      - .actual_access:  read_only
        .address_space:  global
        .offset:         48
        .size:           8
        .value_kind:     global_buffer
      - .actual_access:  read_only
        .address_space:  global
        .offset:         56
        .size:           8
        .value_kind:     global_buffer
      - .offset:         64
        .size:           4
        .value_kind:     by_value
      - .actual_access:  read_only
        .address_space:  global
        .offset:         72
        .size:           8
        .value_kind:     global_buffer
      - .actual_access:  read_only
        .address_space:  global
        .offset:         80
        .size:           8
        .value_kind:     global_buffer
      - .address_space:  global
        .offset:         88
        .size:           8
        .value_kind:     global_buffer
    .group_segment_fixed_size: 0
    .kernarg_segment_align: 8
    .kernarg_segment_size: 96
    .language:       OpenCL C
    .language_version:
      - 2
      - 0
    .max_flat_workgroup_size: 392
    .name:           fft_rtc_back_len280_factors_8_5_7_wgs_392_tpt_56_half_ip_CI_sbcc_twdbase5_3step_dirReg_intrinsicRead
    .private_segment_fixed_size: 0
    .sgpr_count:     47
    .sgpr_spill_count: 0
    .symbol:         fft_rtc_back_len280_factors_8_5_7_wgs_392_tpt_56_half_ip_CI_sbcc_twdbase5_3step_dirReg_intrinsicRead.kd
    .uniform_work_group_size: 1
    .uses_dynamic_stack: false
    .vgpr_count:     55
    .vgpr_spill_count: 0
    .wavefront_size: 64
amdhsa.target:   amdgcn-amd-amdhsa--gfx906
amdhsa.version:
  - 1
  - 2
...

	.end_amdgpu_metadata
